;; amdgpu-corpus repo=ROCm/rocFFT kind=compiled arch=gfx1100 opt=O3
	.text
	.amdgcn_target "amdgcn-amd-amdhsa--gfx1100"
	.amdhsa_code_object_version 6
	.protected	fft_rtc_fwd_len350_factors_5_7_10_wgs_50_tpt_50_dp_op_CI_CI_sbrr_dirReg ; -- Begin function fft_rtc_fwd_len350_factors_5_7_10_wgs_50_tpt_50_dp_op_CI_CI_sbrr_dirReg
	.globl	fft_rtc_fwd_len350_factors_5_7_10_wgs_50_tpt_50_dp_op_CI_CI_sbrr_dirReg
	.p2align	8
	.type	fft_rtc_fwd_len350_factors_5_7_10_wgs_50_tpt_50_dp_op_CI_CI_sbrr_dirReg,@function
fft_rtc_fwd_len350_factors_5_7_10_wgs_50_tpt_50_dp_op_CI_CI_sbrr_dirReg: ; @fft_rtc_fwd_len350_factors_5_7_10_wgs_50_tpt_50_dp_op_CI_CI_sbrr_dirReg
; %bb.0:
	s_clause 0x2
	s_load_b128 s[16:19], s[0:1], 0x18
	s_load_b128 s[8:11], s[0:1], 0x0
	;; [unrolled: 1-line block ×3, first 2 shown]
	v_mul_u32_u24_e32 v1, 0x51f, v0
	v_mov_b32_e32 v3, 0
	s_waitcnt lgkmcnt(0)
	s_load_b64 s[20:21], s[16:17], 0x0
	s_load_b64 s[12:13], s[18:19], 0x0
	v_lshrrev_b32_e32 v1, 16, v1
	v_cmp_lt_u64_e64 s2, s[10:11], 2
	s_delay_alu instid0(VALU_DEP_2)
	v_add_nc_u32_e32 v5, s15, v1
	v_mov_b32_e32 v1, 0
	v_mov_b32_e32 v2, 0
	;; [unrolled: 1-line block ×3, first 2 shown]
	s_and_b32 vcc_lo, exec_lo, s2
	s_cbranch_vccnz .LBB0_8
; %bb.1:
	s_load_b64 s[2:3], s[0:1], 0x10
	v_mov_b32_e32 v1, 0
	v_mov_b32_e32 v2, 0
	s_add_u32 s14, s18, 8
	s_addc_u32 s15, s19, 0
	s_add_u32 s22, s16, 8
	s_addc_u32 s23, s17, 0
	v_dual_mov_b32 v41, v2 :: v_dual_mov_b32 v40, v1
	s_mov_b64 s[26:27], 1
	s_waitcnt lgkmcnt(0)
	s_add_u32 s24, s2, 8
	s_addc_u32 s25, s3, 0
.LBB0_2:                                ; =>This Inner Loop Header: Depth=1
	s_load_b64 s[28:29], s[24:25], 0x0
                                        ; implicit-def: $vgpr42_vgpr43
	s_mov_b32 s2, exec_lo
	s_waitcnt lgkmcnt(0)
	v_or_b32_e32 v4, s29, v6
	s_delay_alu instid0(VALU_DEP_1)
	v_cmpx_ne_u64_e32 0, v[3:4]
	s_xor_b32 s3, exec_lo, s2
	s_cbranch_execz .LBB0_4
; %bb.3:                                ;   in Loop: Header=BB0_2 Depth=1
	v_cvt_f32_u32_e32 v4, s28
	v_cvt_f32_u32_e32 v7, s29
	s_sub_u32 s2, 0, s28
	s_subb_u32 s30, 0, s29
	s_delay_alu instid0(VALU_DEP_1) | instskip(NEXT) | instid1(VALU_DEP_1)
	v_fmac_f32_e32 v4, 0x4f800000, v7
	v_rcp_f32_e32 v4, v4
	s_waitcnt_depctr 0xfff
	v_mul_f32_e32 v4, 0x5f7ffffc, v4
	s_delay_alu instid0(VALU_DEP_1) | instskip(NEXT) | instid1(VALU_DEP_1)
	v_mul_f32_e32 v7, 0x2f800000, v4
	v_trunc_f32_e32 v7, v7
	s_delay_alu instid0(VALU_DEP_1) | instskip(SKIP_1) | instid1(VALU_DEP_2)
	v_fmac_f32_e32 v4, 0xcf800000, v7
	v_cvt_u32_f32_e32 v7, v7
	v_cvt_u32_f32_e32 v4, v4
	s_delay_alu instid0(VALU_DEP_2) | instskip(NEXT) | instid1(VALU_DEP_2)
	v_mul_lo_u32 v8, s2, v7
	v_mul_hi_u32 v9, s2, v4
	v_mul_lo_u32 v10, s30, v4
	s_delay_alu instid0(VALU_DEP_2) | instskip(SKIP_1) | instid1(VALU_DEP_2)
	v_add_nc_u32_e32 v8, v9, v8
	v_mul_lo_u32 v9, s2, v4
	v_add_nc_u32_e32 v8, v8, v10
	s_delay_alu instid0(VALU_DEP_2) | instskip(NEXT) | instid1(VALU_DEP_2)
	v_mul_hi_u32 v10, v4, v9
	v_mul_lo_u32 v11, v4, v8
	v_mul_hi_u32 v12, v4, v8
	v_mul_hi_u32 v13, v7, v9
	v_mul_lo_u32 v9, v7, v9
	v_mul_hi_u32 v14, v7, v8
	v_mul_lo_u32 v8, v7, v8
	v_add_co_u32 v10, vcc_lo, v10, v11
	v_add_co_ci_u32_e32 v11, vcc_lo, 0, v12, vcc_lo
	s_delay_alu instid0(VALU_DEP_2) | instskip(NEXT) | instid1(VALU_DEP_2)
	v_add_co_u32 v9, vcc_lo, v10, v9
	v_add_co_ci_u32_e32 v9, vcc_lo, v11, v13, vcc_lo
	v_add_co_ci_u32_e32 v10, vcc_lo, 0, v14, vcc_lo
	s_delay_alu instid0(VALU_DEP_2) | instskip(NEXT) | instid1(VALU_DEP_2)
	v_add_co_u32 v8, vcc_lo, v9, v8
	v_add_co_ci_u32_e32 v9, vcc_lo, 0, v10, vcc_lo
	s_delay_alu instid0(VALU_DEP_2) | instskip(NEXT) | instid1(VALU_DEP_2)
	v_add_co_u32 v4, vcc_lo, v4, v8
	v_add_co_ci_u32_e32 v7, vcc_lo, v7, v9, vcc_lo
	s_delay_alu instid0(VALU_DEP_2) | instskip(SKIP_1) | instid1(VALU_DEP_3)
	v_mul_hi_u32 v8, s2, v4
	v_mul_lo_u32 v10, s30, v4
	v_mul_lo_u32 v9, s2, v7
	s_delay_alu instid0(VALU_DEP_1) | instskip(SKIP_1) | instid1(VALU_DEP_2)
	v_add_nc_u32_e32 v8, v8, v9
	v_mul_lo_u32 v9, s2, v4
	v_add_nc_u32_e32 v8, v8, v10
	s_delay_alu instid0(VALU_DEP_2) | instskip(NEXT) | instid1(VALU_DEP_2)
	v_mul_hi_u32 v10, v4, v9
	v_mul_lo_u32 v11, v4, v8
	v_mul_hi_u32 v12, v4, v8
	v_mul_hi_u32 v13, v7, v9
	v_mul_lo_u32 v9, v7, v9
	v_mul_hi_u32 v14, v7, v8
	v_mul_lo_u32 v8, v7, v8
	v_add_co_u32 v10, vcc_lo, v10, v11
	v_add_co_ci_u32_e32 v11, vcc_lo, 0, v12, vcc_lo
	s_delay_alu instid0(VALU_DEP_2) | instskip(NEXT) | instid1(VALU_DEP_2)
	v_add_co_u32 v9, vcc_lo, v10, v9
	v_add_co_ci_u32_e32 v9, vcc_lo, v11, v13, vcc_lo
	v_add_co_ci_u32_e32 v10, vcc_lo, 0, v14, vcc_lo
	s_delay_alu instid0(VALU_DEP_2) | instskip(NEXT) | instid1(VALU_DEP_2)
	v_add_co_u32 v8, vcc_lo, v9, v8
	v_add_co_ci_u32_e32 v9, vcc_lo, 0, v10, vcc_lo
	s_delay_alu instid0(VALU_DEP_2) | instskip(NEXT) | instid1(VALU_DEP_2)
	v_add_co_u32 v4, vcc_lo, v4, v8
	v_add_co_ci_u32_e32 v13, vcc_lo, v7, v9, vcc_lo
	s_delay_alu instid0(VALU_DEP_2) | instskip(SKIP_1) | instid1(VALU_DEP_3)
	v_mul_hi_u32 v14, v5, v4
	v_mad_u64_u32 v[9:10], null, v6, v4, 0
	v_mad_u64_u32 v[7:8], null, v5, v13, 0
	;; [unrolled: 1-line block ×3, first 2 shown]
	s_delay_alu instid0(VALU_DEP_2) | instskip(NEXT) | instid1(VALU_DEP_3)
	v_add_co_u32 v4, vcc_lo, v14, v7
	v_add_co_ci_u32_e32 v7, vcc_lo, 0, v8, vcc_lo
	s_delay_alu instid0(VALU_DEP_2) | instskip(NEXT) | instid1(VALU_DEP_2)
	v_add_co_u32 v4, vcc_lo, v4, v9
	v_add_co_ci_u32_e32 v4, vcc_lo, v7, v10, vcc_lo
	v_add_co_ci_u32_e32 v7, vcc_lo, 0, v12, vcc_lo
	s_delay_alu instid0(VALU_DEP_2) | instskip(NEXT) | instid1(VALU_DEP_2)
	v_add_co_u32 v4, vcc_lo, v4, v11
	v_add_co_ci_u32_e32 v9, vcc_lo, 0, v7, vcc_lo
	s_delay_alu instid0(VALU_DEP_2) | instskip(SKIP_1) | instid1(VALU_DEP_3)
	v_mul_lo_u32 v10, s29, v4
	v_mad_u64_u32 v[7:8], null, s28, v4, 0
	v_mul_lo_u32 v11, s28, v9
	s_delay_alu instid0(VALU_DEP_2) | instskip(NEXT) | instid1(VALU_DEP_2)
	v_sub_co_u32 v7, vcc_lo, v5, v7
	v_add3_u32 v8, v8, v11, v10
	s_delay_alu instid0(VALU_DEP_1) | instskip(NEXT) | instid1(VALU_DEP_1)
	v_sub_nc_u32_e32 v10, v6, v8
	v_subrev_co_ci_u32_e64 v10, s2, s29, v10, vcc_lo
	v_add_co_u32 v11, s2, v4, 2
	s_delay_alu instid0(VALU_DEP_1) | instskip(SKIP_3) | instid1(VALU_DEP_3)
	v_add_co_ci_u32_e64 v12, s2, 0, v9, s2
	v_sub_co_u32 v13, s2, v7, s28
	v_sub_co_ci_u32_e32 v8, vcc_lo, v6, v8, vcc_lo
	v_subrev_co_ci_u32_e64 v10, s2, 0, v10, s2
	v_cmp_le_u32_e32 vcc_lo, s28, v13
	s_delay_alu instid0(VALU_DEP_3) | instskip(SKIP_1) | instid1(VALU_DEP_4)
	v_cmp_eq_u32_e64 s2, s29, v8
	v_cndmask_b32_e64 v13, 0, -1, vcc_lo
	v_cmp_le_u32_e32 vcc_lo, s29, v10
	v_cndmask_b32_e64 v14, 0, -1, vcc_lo
	v_cmp_le_u32_e32 vcc_lo, s28, v7
	;; [unrolled: 2-line block ×3, first 2 shown]
	v_cndmask_b32_e64 v15, 0, -1, vcc_lo
	v_cmp_eq_u32_e32 vcc_lo, s29, v10
	s_delay_alu instid0(VALU_DEP_2) | instskip(SKIP_3) | instid1(VALU_DEP_3)
	v_cndmask_b32_e64 v7, v15, v7, s2
	v_cndmask_b32_e32 v10, v14, v13, vcc_lo
	v_add_co_u32 v13, vcc_lo, v4, 1
	v_add_co_ci_u32_e32 v14, vcc_lo, 0, v9, vcc_lo
	v_cmp_ne_u32_e32 vcc_lo, 0, v10
	s_delay_alu instid0(VALU_DEP_2) | instskip(NEXT) | instid1(VALU_DEP_4)
	v_cndmask_b32_e32 v8, v14, v12, vcc_lo
	v_cndmask_b32_e32 v10, v13, v11, vcc_lo
	v_cmp_ne_u32_e32 vcc_lo, 0, v7
	s_delay_alu instid0(VALU_DEP_2)
	v_dual_cndmask_b32 v43, v9, v8 :: v_dual_cndmask_b32 v42, v4, v10
.LBB0_4:                                ;   in Loop: Header=BB0_2 Depth=1
	s_and_not1_saveexec_b32 s2, s3
	s_cbranch_execz .LBB0_6
; %bb.5:                                ;   in Loop: Header=BB0_2 Depth=1
	v_cvt_f32_u32_e32 v4, s28
	s_sub_i32 s3, 0, s28
	v_mov_b32_e32 v43, v3
	s_delay_alu instid0(VALU_DEP_2) | instskip(SKIP_2) | instid1(VALU_DEP_1)
	v_rcp_iflag_f32_e32 v4, v4
	s_waitcnt_depctr 0xfff
	v_mul_f32_e32 v4, 0x4f7ffffe, v4
	v_cvt_u32_f32_e32 v4, v4
	s_delay_alu instid0(VALU_DEP_1) | instskip(NEXT) | instid1(VALU_DEP_1)
	v_mul_lo_u32 v7, s3, v4
	v_mul_hi_u32 v7, v4, v7
	s_delay_alu instid0(VALU_DEP_1) | instskip(NEXT) | instid1(VALU_DEP_1)
	v_add_nc_u32_e32 v4, v4, v7
	v_mul_hi_u32 v4, v5, v4
	s_delay_alu instid0(VALU_DEP_1) | instskip(SKIP_1) | instid1(VALU_DEP_2)
	v_mul_lo_u32 v7, v4, s28
	v_add_nc_u32_e32 v8, 1, v4
	v_sub_nc_u32_e32 v7, v5, v7
	s_delay_alu instid0(VALU_DEP_1) | instskip(SKIP_1) | instid1(VALU_DEP_2)
	v_subrev_nc_u32_e32 v9, s28, v7
	v_cmp_le_u32_e32 vcc_lo, s28, v7
	v_dual_cndmask_b32 v7, v7, v9 :: v_dual_cndmask_b32 v4, v4, v8
	s_delay_alu instid0(VALU_DEP_1) | instskip(NEXT) | instid1(VALU_DEP_2)
	v_cmp_le_u32_e32 vcc_lo, s28, v7
	v_add_nc_u32_e32 v8, 1, v4
	s_delay_alu instid0(VALU_DEP_1)
	v_cndmask_b32_e32 v42, v4, v8, vcc_lo
.LBB0_6:                                ;   in Loop: Header=BB0_2 Depth=1
	s_or_b32 exec_lo, exec_lo, s2
	s_delay_alu instid0(VALU_DEP_1) | instskip(NEXT) | instid1(VALU_DEP_2)
	v_mul_lo_u32 v4, v43, s28
	v_mul_lo_u32 v9, v42, s29
	s_load_b64 s[2:3], s[22:23], 0x0
	v_mad_u64_u32 v[7:8], null, v42, s28, 0
	s_load_b64 s[28:29], s[14:15], 0x0
	s_add_u32 s26, s26, 1
	s_addc_u32 s27, s27, 0
	s_add_u32 s14, s14, 8
	s_addc_u32 s15, s15, 0
	s_add_u32 s22, s22, 8
	s_delay_alu instid0(VALU_DEP_1) | instskip(SKIP_3) | instid1(VALU_DEP_2)
	v_add3_u32 v4, v8, v9, v4
	v_sub_co_u32 v8, vcc_lo, v5, v7
	s_addc_u32 s23, s23, 0
	s_add_u32 s24, s24, 8
	v_sub_co_ci_u32_e32 v6, vcc_lo, v6, v4, vcc_lo
	s_addc_u32 s25, s25, 0
	s_waitcnt lgkmcnt(0)
	s_delay_alu instid0(VALU_DEP_1)
	v_mul_lo_u32 v9, s2, v6
	v_mul_lo_u32 v10, s3, v8
	v_mad_u64_u32 v[4:5], null, s2, v8, v[1:2]
	v_mul_lo_u32 v11, s28, v6
	v_mul_lo_u32 v12, s29, v8
	v_mad_u64_u32 v[6:7], null, s28, v8, v[40:41]
	v_cmp_ge_u64_e64 s2, s[26:27], s[10:11]
	v_add3_u32 v2, v10, v5, v9
	s_delay_alu instid0(VALU_DEP_3) | instskip(NEXT) | instid1(VALU_DEP_4)
	v_dual_mov_b32 v1, v4 :: v_dual_mov_b32 v40, v6
	v_add3_u32 v41, v12, v7, v11
	s_delay_alu instid0(VALU_DEP_4)
	s_and_b32 vcc_lo, exec_lo, s2
	s_cbranch_vccnz .LBB0_9
; %bb.7:                                ;   in Loop: Header=BB0_2 Depth=1
	v_dual_mov_b32 v5, v42 :: v_dual_mov_b32 v6, v43
	s_branch .LBB0_2
.LBB0_8:
	s_delay_alu instid0(VALU_DEP_2) | instskip(NEXT) | instid1(VALU_DEP_2)
	v_dual_mov_b32 v41, v2 :: v_dual_mov_b32 v40, v1
	v_dual_mov_b32 v43, v6 :: v_dual_mov_b32 v42, v5
.LBB0_9:
	s_load_b64 s[0:1], s[0:1], 0x28
	v_mul_hi_u32 v3, 0x51eb852, v0
	s_lshl_b64 s[10:11], s[10:11], 3
                                        ; implicit-def: $vgpr52
                                        ; implicit-def: $vgpr54
	s_delay_alu instid0(SALU_CYCLE_1) | instskip(SKIP_4) | instid1(VALU_DEP_1)
	s_add_u32 s2, s18, s10
	s_addc_u32 s3, s19, s11
	s_waitcnt lgkmcnt(0)
	v_cmp_gt_u64_e32 vcc_lo, s[0:1], v[42:43]
	v_cmp_le_u64_e64 s0, s[0:1], v[42:43]
	s_and_saveexec_b32 s1, s0
	s_delay_alu instid0(SALU_CYCLE_1)
	s_xor_b32 s0, exec_lo, s1
; %bb.10:
	v_mul_u32_u24_e32 v1, 50, v3
                                        ; implicit-def: $vgpr3
	s_delay_alu instid0(VALU_DEP_1) | instskip(NEXT) | instid1(VALU_DEP_1)
	v_sub_nc_u32_e32 v52, v0, v1
                                        ; implicit-def: $vgpr0
                                        ; implicit-def: $vgpr1_vgpr2
	v_add_nc_u32_e32 v54, 50, v52
; %bb.11:
	s_and_not1_saveexec_b32 s1, s0
	s_cbranch_execz .LBB0_13
; %bb.12:
	s_add_u32 s10, s16, s10
	s_addc_u32 s11, s17, s11
	v_mul_u32_u24_e32 v3, 50, v3
	s_load_b64 s[10:11], s[10:11], 0x0
	s_delay_alu instid0(VALU_DEP_1) | instskip(SKIP_1) | instid1(VALU_DEP_2)
	v_sub_nc_u32_e32 v52, v0, v3
	v_lshlrev_b64 v[0:1], 4, v[1:2]
	v_mad_u64_u32 v[3:4], null, s20, v52, 0
	v_add_nc_u32_e32 v21, 0xc8, v52
	v_add_nc_u32_e32 v18, 0x64, v52
	;; [unrolled: 1-line block ×4, first 2 shown]
	v_lshl_add_u32 v28, v52, 4, 0
	v_mov_b32_e32 v2, v4
	v_mad_u64_u32 v[9:10], null, s20, v18, 0
	s_waitcnt lgkmcnt(0)
	v_mul_lo_u32 v4, s11, v42
	v_mul_lo_u32 v14, s10, v43
	v_mad_u64_u32 v[5:6], null, s10, v42, 0
	v_mad_u64_u32 v[11:12], null, s21, v52, v[2:3]
	;; [unrolled: 1-line block ×3, first 2 shown]
	s_delay_alu instid0(VALU_DEP_3) | instskip(SKIP_3) | instid1(VALU_DEP_4)
	v_add3_u32 v6, v6, v14, v4
	v_mad_u64_u32 v[14:15], null, s20, v21, 0
	v_add_nc_u32_e32 v54, 50, v52
	v_mov_b32_e32 v4, v11
	v_lshlrev_b64 v[5:6], 4, v[5:6]
	s_delay_alu instid0(VALU_DEP_3) | instskip(NEXT) | instid1(VALU_DEP_1)
	v_mad_u64_u32 v[7:8], null, s20, v54, 0
	v_mov_b32_e32 v2, v8
	v_mov_b32_e32 v8, v10
	s_delay_alu instid0(VALU_DEP_2)
	v_mad_u64_u32 v[10:11], null, s21, v54, v[2:3]
	v_add_nc_u32_e32 v11, 0xfa, v52
	v_lshlrev_b64 v[2:3], 4, v[3:4]
	v_add_co_u32 v4, s0, s4, v5
	v_mad_u64_u32 v[16:17], null, s21, v18, v[8:9]
	v_add_co_ci_u32_e64 v5, s0, s5, v6, s0
	v_mov_b32_e32 v8, v10
	s_delay_alu instid0(VALU_DEP_4) | instskip(NEXT) | instid1(VALU_DEP_1)
	v_add_co_u32 v24, s0, v4, v0
	v_add_co_ci_u32_e64 v25, s0, v5, v1, s0
	s_delay_alu instid0(VALU_DEP_3) | instskip(NEXT) | instid1(VALU_DEP_3)
	v_lshlrev_b64 v[0:1], 4, v[7:8]
	v_add_co_u32 v2, s0, v24, v2
	s_delay_alu instid0(VALU_DEP_1) | instskip(SKIP_1) | instid1(VALU_DEP_4)
	v_add_co_ci_u32_e64 v3, s0, v25, v3, s0
	v_mov_b32_e32 v10, v16
	v_add_co_u32 v4, s0, v24, v0
	s_delay_alu instid0(VALU_DEP_1) | instskip(SKIP_3) | instid1(VALU_DEP_3)
	v_add_co_ci_u32_e64 v5, s0, v25, v1, s0
	v_dual_mov_b32 v0, v13 :: v_dual_mov_b32 v1, v15
	v_mad_u64_u32 v[16:17], null, s20, v11, 0
	v_lshlrev_b64 v[9:10], 4, v[9:10]
	v_mad_u64_u32 v[18:19], null, s21, v20, v[0:1]
	v_mad_u64_u32 v[19:20], null, s21, v21, v[1:2]
	;; [unrolled: 1-line block ×3, first 2 shown]
	v_mov_b32_e32 v8, v17
	s_clause 0x1
	global_load_b128 v[0:3], v[2:3], off
	global_load_b128 v[4:7], v[4:5], off
	v_mov_b32_e32 v13, v18
	v_mov_b32_e32 v15, v19
	v_mad_u64_u32 v[17:18], null, s21, v11, v[8:9]
	v_mov_b32_e32 v8, v21
	v_add_co_u32 v9, s0, v24, v9
	v_lshlrev_b64 v[11:12], 4, v[12:13]
	v_lshlrev_b64 v[13:14], 4, v[14:15]
	v_add_co_ci_u32_e64 v10, s0, v25, v10, s0
	s_delay_alu instid0(VALU_DEP_4) | instskip(NEXT) | instid1(VALU_DEP_4)
	v_mad_u64_u32 v[18:19], null, s21, v22, v[8:9]
	v_add_co_u32 v22, s0, v24, v11
	s_delay_alu instid0(VALU_DEP_1) | instskip(SKIP_4) | instid1(VALU_DEP_2)
	v_add_co_ci_u32_e64 v23, s0, v25, v12, s0
	v_lshlrev_b64 v[11:12], 4, v[16:17]
	v_add_co_u32 v16, s0, v24, v13
	v_mov_b32_e32 v21, v18
	v_add_co_ci_u32_e64 v17, s0, v25, v14, s0
	v_lshlrev_b64 v[13:14], 4, v[20:21]
	v_add_co_u32 v20, s0, v24, v11
	s_delay_alu instid0(VALU_DEP_1) | instskip(NEXT) | instid1(VALU_DEP_3)
	v_add_co_ci_u32_e64 v21, s0, v25, v12, s0
	v_add_co_u32 v24, s0, v24, v13
	s_delay_alu instid0(VALU_DEP_1)
	v_add_co_ci_u32_e64 v25, s0, v25, v14, s0
	s_clause 0x4
	global_load_b128 v[8:11], v[9:10], off
	global_load_b128 v[12:15], v[22:23], off
	global_load_b128 v[16:19], v[16:17], off
	global_load_b128 v[20:23], v[20:21], off
	global_load_b128 v[24:27], v[24:25], off
	s_waitcnt vmcnt(6)
	ds_store_b128 v28, v[0:3]
	s_waitcnt vmcnt(5)
	ds_store_b128 v28, v[4:7] offset:800
	s_waitcnt vmcnt(4)
	ds_store_b128 v28, v[8:11] offset:1600
	;; [unrolled: 2-line block ×6, first 2 shown]
.LBB0_13:
	s_or_b32 exec_lo, exec_lo, s1
	v_lshl_add_u32 v53, v52, 4, 0
	s_load_b64 s[2:3], s[2:3], 0x0
	s_waitcnt lgkmcnt(0)
	s_barrier
	buffer_gl0_inv
	ds_load_b128 v[0:3], v53 offset:3360
	ds_load_b128 v[4:7], v53 offset:2240
	;; [unrolled: 1-line block ×6, first 2 shown]
	ds_load_b128 v[36:39], v53
	ds_load_b128 v[24:27], v53 offset:1920
	ds_load_b128 v[16:19], v53 offset:5280
	;; [unrolled: 1-line block ×3, first 2 shown]
	s_mov_b32 s4, 0x134454ff
	s_mov_b32 s5, 0x3fee6f0e
	;; [unrolled: 1-line block ×8, first 2 shown]
	s_waitcnt lgkmcnt(0)
	s_barrier
	buffer_gl0_inv
	v_add_f64 v[44:45], v[4:5], v[0:1]
	v_add_f64 v[48:49], v[6:7], v[2:3]
	v_add_f64 v[63:64], v[8:9], -v[0:1]
	v_add_f64 v[67:68], v[0:1], -v[8:9]
	v_add_f64 v[46:47], v[32:33], v[8:9]
	v_add_f64 v[50:51], v[34:35], v[10:11]
	;; [unrolled: 1-line block ×4, first 2 shown]
	v_add_f64 v[59:60], v[34:35], -v[10:11]
	v_add_f64 v[61:62], v[32:33], -v[4:5]
	v_add_f64 v[65:66], v[4:5], -v[32:33]
	v_add_f64 v[69:70], v[34:35], -v[6:7]
	v_add_f64 v[71:72], v[10:11], -v[2:3]
	v_add_f64 v[73:74], v[6:7], -v[34:35]
	v_add_f64 v[34:35], v[20:21], v[12:13]
	v_add_f64 v[75:76], v[24:25], v[16:17]
	;; [unrolled: 1-line block ×4, first 2 shown]
	v_add_f64 v[85:86], v[6:7], -v[2:3]
	v_add_f64 v[87:88], v[32:33], -v[8:9]
	;; [unrolled: 1-line block ×12, first 2 shown]
	v_fma_f64 v[81:82], v[44:45], -0.5, v[36:37]
	v_fma_f64 v[103:104], v[48:49], -0.5, v[38:39]
	;; [unrolled: 1-line block ×4, first 2 shown]
	v_add_f64 v[55:56], v[55:56], v[4:5]
	v_add_f64 v[6:7], v[57:58], v[6:7]
	v_add_f64 v[4:5], v[4:5], -v[0:1]
	v_add_f64 v[61:62], v[61:62], v[63:64]
	v_add_f64 v[36:37], v[22:23], -v[14:15]
	;; [unrolled: 2-line block ×4, first 2 shown]
	v_fma_f64 v[34:35], v[34:35], -0.5, v[28:29]
	v_fma_f64 v[57:58], v[75:76], -0.5, v[28:29]
	;; [unrolled: 1-line block ×4, first 2 shown]
	v_add_f64 v[46:47], v[89:90], v[91:92]
	v_add_f64 v[75:76], v[93:94], v[95:96]
	;; [unrolled: 1-line block ×5, first 2 shown]
	v_fma_f64 v[63:64], v[59:60], s[4:5], v[81:82]
	v_fma_f64 v[67:68], v[59:60], s[0:1], v[81:82]
	;; [unrolled: 1-line block ×4, first 2 shown]
	v_add_f64 v[0:1], v[55:56], v[0:1]
	v_add_f64 v[2:3], v[6:7], v[2:3]
	v_fma_f64 v[6:7], v[85:86], s[0:1], v[101:102]
	v_fma_f64 v[55:56], v[85:86], s[4:5], v[101:102]
	;; [unrolled: 1-line block ×14, first 2 shown]
	s_mov_b32 s1, exec_lo
	v_fma_f64 v[6:7], v[59:60], s[10:11], v[6:7]
	v_fma_f64 v[97:98], v[59:60], s[14:15], v[55:56]
	;; [unrolled: 1-line block ×4, first 2 shown]
	v_add_f64 v[55:56], v[0:1], v[8:9]
	v_fma_f64 v[87:88], v[36:37], s[14:15], v[91:92]
	v_fma_f64 v[89:90], v[32:33], s[10:11], v[93:94]
	;; [unrolled: 1-line block ×4, first 2 shown]
	v_add_f64 v[57:58], v[2:3], v[10:11]
	v_fma_f64 v[85:86], v[50:51], s[14:15], v[85:86]
	v_fma_f64 v[95:96], v[50:51], s[10:11], v[71:72]
	s_mov_b32 s14, 0x372fe950
	s_mov_b32 s15, 0x3fd3c6ef
	s_delay_alu instid0(SALU_CYCLE_1)
	v_fma_f64 v[59:60], v[61:62], s[14:15], v[63:64]
	v_fma_f64 v[63:64], v[61:62], s[14:15], v[67:68]
	;; [unrolled: 1-line block ×12, first 2 shown]
	v_lshl_add_u32 v75, v52, 6, v53
	ds_store_b128 v75, v[55:58]
	ds_store_b128 v75, v[59:62] offset:16
	ds_store_b128 v75, v[67:70] offset:32
	;; [unrolled: 1-line block ×4, first 2 shown]
	v_fma_f64 v[6:7], v[77:78], s[14:15], v[85:86]
	v_fma_f64 v[2:3], v[77:78], s[14:15], v[95:96]
	v_cmpx_gt_u32_e32 20, v52
	s_cbranch_execz .LBB0_15
; %bb.14:
	v_add_f64 v[26:27], v[30:31], v[26:27]
	v_add_f64 v[24:25], v[28:29], v[24:25]
	v_mul_f64 v[50:51], v[50:51], s[4:5]
	v_mul_f64 v[28:29], v[32:33], s[4:5]
	;; [unrolled: 1-line block ×4, first 2 shown]
	v_add_f64 v[22:23], v[26:27], v[22:23]
	v_add_f64 v[20:21], v[24:25], v[20:21]
	v_add_f64 v[36:37], v[44:45], -v[50:51]
	v_add_f64 v[24:25], v[34:35], v[28:29]
	v_mul_f64 v[26:27], v[46:47], s[14:15]
	v_mul_f64 v[28:29], v[48:49], s[14:15]
	v_add_f64 v[22:23], v[22:23], v[14:15]
	v_add_f64 v[12:13], v[20:21], v[12:13]
	v_add_f64 v[32:33], v[36:37], -v[32:33]
	v_add_f64 v[20:21], v[30:31], v[24:25]
	s_delay_alu instid0(VALU_DEP_4) | instskip(NEXT) | instid1(VALU_DEP_4)
	v_add_f64 v[18:19], v[22:23], v[18:19]
	v_add_f64 v[16:17], v[12:13], v[16:17]
	s_delay_alu instid0(VALU_DEP_4) | instskip(NEXT) | instid1(VALU_DEP_4)
	v_add_f64 v[14:15], v[28:29], v[32:33]
	v_add_f64 v[12:13], v[26:27], v[20:21]
	v_mad_i32_i24 v20, 0x50, v54, 0
	ds_store_b128 v20, v[4:7] offset:32
	ds_store_b128 v20, v[0:3] offset:48
	ds_store_b128 v20, v[16:19]
	ds_store_b128 v20, v[12:15] offset:16
	ds_store_b128 v20, v[8:11] offset:64
.LBB0_15:
	s_or_b32 exec_lo, exec_lo, s1
	v_and_b32_e32 v12, 0xff, v52
	s_waitcnt lgkmcnt(0)
	s_barrier
	buffer_gl0_inv
	v_lshl_add_u32 v36, v54, 4, 0
	v_mul_lo_u16 v12, 0xcd, v12
	s_mov_b32 s0, 0x37e14327
	s_mov_b32 s1, 0x3fe948f6
	;; [unrolled: 1-line block ×4, first 2 shown]
	v_lshrrev_b16 v78, 10, v12
	s_mov_b32 s5, 0x3fac98ee
	s_mov_b32 s11, 0xbfe11646
	;; [unrolled: 1-line block ×4, first 2 shown]
	v_mul_lo_u16 v12, v78, 5
	s_mov_b32 s17, 0x3fd5d0dc
	s_mov_b32 s16, 0xb247c609
	s_delay_alu instid0(VALU_DEP_1) | instskip(NEXT) | instid1(VALU_DEP_1)
	v_sub_nc_u16 v12, v52, v12
	v_and_b32_e32 v79, 0xff, v12
	s_delay_alu instid0(VALU_DEP_1) | instskip(NEXT) | instid1(VALU_DEP_1)
	v_mul_u32_u24_e32 v12, 6, v79
	v_lshlrev_b32_e32 v32, 4, v12
	s_clause 0x5
	global_load_b128 v[12:15], v32, s[8:9]
	global_load_b128 v[16:19], v32, s[8:9] offset:16
	global_load_b128 v[20:23], v32, s[8:9] offset:80
	;; [unrolled: 1-line block ×5, first 2 shown]
	ds_load_b128 v[36:39], v36
	ds_load_b128 v[44:47], v53 offset:1600
	ds_load_b128 v[48:51], v53 offset:4800
	;; [unrolled: 1-line block ×5, first 2 shown]
	s_waitcnt vmcnt(5) lgkmcnt(5)
	v_mul_f64 v[66:67], v[38:39], v[14:15]
	v_mul_f64 v[14:15], v[36:37], v[14:15]
	s_waitcnt vmcnt(4) lgkmcnt(4)
	v_mul_f64 v[68:69], v[46:47], v[18:19]
	v_mul_f64 v[18:19], v[44:45], v[18:19]
	;; [unrolled: 3-line block ×6, first 2 shown]
	v_fma_f64 v[36:37], v[36:37], v[12:13], -v[66:67]
	v_fma_f64 v[12:13], v[38:39], v[12:13], v[14:15]
	v_fma_f64 v[14:15], v[44:45], v[16:17], -v[68:69]
	v_fma_f64 v[16:17], v[46:47], v[16:17], v[18:19]
	;; [unrolled: 2-line block ×6, first 2 shown]
	v_add_f64 v[34:35], v[36:37], v[18:19]
	v_add_f64 v[38:39], v[12:13], v[20:21]
	;; [unrolled: 1-line block ×4, first 2 shown]
	v_add_f64 v[22:23], v[14:15], -v[22:23]
	v_add_f64 v[16:17], v[16:17], -v[24:25]
	v_add_f64 v[48:49], v[26:27], v[30:31]
	v_add_f64 v[50:51], v[28:29], v[32:33]
	v_add_f64 v[24:25], v[30:31], -v[26:27]
	v_add_f64 v[26:27], v[32:33], -v[28:29]
	;; [unrolled: 1-line block ×4, first 2 shown]
	v_add_f64 v[12:13], v[44:45], v[34:35]
	v_add_f64 v[14:15], v[46:47], v[38:39]
	v_add_f64 v[28:29], v[34:35], -v[48:49]
	v_add_f64 v[30:31], v[38:39], -v[50:51]
	;; [unrolled: 1-line block ×10, first 2 shown]
	v_add_f64 v[22:23], v[24:25], v[22:23]
	v_add_f64 v[16:17], v[26:27], v[16:17]
	v_add_f64 v[24:25], v[18:19], -v[24:25]
	v_add_f64 v[26:27], v[20:21], -v[26:27]
	v_add_f64 v[48:49], v[48:49], v[12:13]
	v_add_f64 v[50:51], v[50:51], v[14:15]
	ds_load_b128 v[12:15], v53
	s_waitcnt lgkmcnt(0)
	v_mul_f64 v[28:29], v[28:29], s[0:1]
	v_mul_f64 v[30:31], v[30:31], s[0:1]
	s_mov_b32 s0, 0x429ad128
	v_mul_f64 v[44:45], v[32:33], s[4:5]
	v_mul_f64 v[46:47], v[36:37], s[4:5]
	v_mul_f64 v[54:55], v[54:55], s[10:11]
	v_mul_f64 v[56:57], v[56:57], s[10:11]
	s_mov_b32 s1, 0x3febfeb5
	s_mov_b32 s10, 0xaaaaaaaa
	v_mul_f64 v[62:63], v[58:59], s[0:1]
	v_mul_f64 v[64:65], v[60:61], s[0:1]
	s_mov_b32 s11, 0xbff2aaaa
	v_add_f64 v[18:19], v[22:23], v[18:19]
	v_add_f64 v[16:17], v[16:17], v[20:21]
	s_barrier
	buffer_gl0_inv
	v_add_f64 v[12:13], v[12:13], v[48:49]
	v_add_f64 v[14:15], v[14:15], v[50:51]
	v_fma_f64 v[20:21], v[32:33], s[4:5], v[28:29]
	v_fma_f64 v[22:23], v[36:37], s[4:5], v[30:31]
	v_fma_f64 v[32:33], v[34:35], s[14:15], -v[44:45]
	v_fma_f64 v[36:37], v[38:39], s[14:15], -v[46:47]
	s_mov_b32 s15, 0xbfe77f67
	v_fma_f64 v[44:45], v[24:25], s[16:17], v[54:55]
	v_fma_f64 v[46:47], v[26:27], s[16:17], v[56:57]
	s_mov_b32 s17, 0xbfd5d0dc
	v_fma_f64 v[54:55], v[58:59], s[0:1], -v[54:55]
	v_fma_f64 v[56:57], v[60:61], s[0:1], -v[56:57]
	v_fma_f64 v[24:25], v[24:25], s[16:17], -v[62:63]
	v_fma_f64 v[26:27], v[26:27], s[16:17], -v[64:65]
	v_fma_f64 v[28:29], v[34:35], s[14:15], -v[28:29]
	v_fma_f64 v[30:31], v[38:39], s[14:15], -v[30:31]
	s_mov_b32 s0, 0x37c3f68c
	s_mov_b32 s1, 0x3fdc38aa
	v_fma_f64 v[48:49], v[48:49], s[10:11], v[12:13]
	v_fma_f64 v[50:51], v[50:51], s[10:11], v[14:15]
	v_fma_f64 v[34:35], v[18:19], s[0:1], v[44:45]
	v_fma_f64 v[44:45], v[16:17], s[0:1], v[46:47]
	v_fma_f64 v[38:39], v[18:19], s[0:1], v[54:55]
	v_fma_f64 v[46:47], v[16:17], s[0:1], v[56:57]
	v_fma_f64 v[54:55], v[18:19], s[0:1], v[24:25]
	v_fma_f64 v[56:57], v[16:17], s[0:1], v[26:27]
	v_cmp_gt_u32_e64 s0, 35, v52
	v_add_f64 v[58:59], v[20:21], v[48:49]
	v_add_f64 v[60:61], v[22:23], v[50:51]
	;; [unrolled: 1-line block ×7, first 2 shown]
	v_add_f64 v[18:19], v[60:61], -v[34:35]
	v_add_f64 v[20:21], v[56:57], v[62:63]
	v_add_f64 v[22:23], v[64:65], -v[54:55]
	v_add_f64 v[28:29], v[24:25], -v[46:47]
	v_add_f64 v[30:31], v[38:39], v[26:27]
	v_add_f64 v[24:25], v[46:47], v[24:25]
	v_add_f64 v[26:27], v[26:27], -v[38:39]
	v_add_f64 v[36:37], v[62:63], -v[56:57]
	v_add_f64 v[38:39], v[54:55], v[64:65]
	v_add_f64 v[32:33], v[58:59], -v[44:45]
	v_add_f64 v[34:35], v[34:35], v[60:61]
	v_and_b32_e32 v44, 0xffff, v78
	v_lshlrev_b32_e32 v45, 4, v79
	s_delay_alu instid0(VALU_DEP_2) | instskip(NEXT) | instid1(VALU_DEP_1)
	v_mul_u32_u24_e32 v44, 0x230, v44
	v_add3_u32 v44, 0, v44, v45
	ds_store_b128 v44, v[12:15]
	ds_store_b128 v44, v[16:19] offset:80
	ds_store_b128 v44, v[20:23] offset:160
	;; [unrolled: 1-line block ×6, first 2 shown]
	s_waitcnt lgkmcnt(0)
	s_barrier
	buffer_gl0_inv
	s_and_saveexec_b32 s1, s0
	s_cbranch_execz .LBB0_17
; %bb.16:
	ds_load_b128 v[12:15], v53
	ds_load_b128 v[16:19], v53 offset:560
	ds_load_b128 v[20:23], v53 offset:1120
	;; [unrolled: 1-line block ×9, first 2 shown]
.LBB0_17:
	s_or_b32 exec_lo, exec_lo, s1
	s_waitcnt lgkmcnt(0)
	s_barrier
	buffer_gl0_inv
	s_and_saveexec_b32 s14, s0
	s_cbranch_execz .LBB0_19
; %bb.18:
	v_subrev_nc_u32_e32 v44, 35, v52
	v_mov_b32_e32 v45, 0
	s_mov_b32 s5, 0xbfee6f0e
	s_mov_b32 s11, 0xbfe2cf23
	;; [unrolled: 1-line block ×3, first 2 shown]
	v_cndmask_b32_e64 v44, v44, v52, s0
	s_mov_b32 s17, 0x3fd3c6ef
	s_mov_b32 s18, 0x9b97f4a8
	;; [unrolled: 1-line block ×3, first 2 shown]
	s_delay_alu instid0(VALU_DEP_1) | instskip(NEXT) | instid1(VALU_DEP_1)
	v_mul_i32_i24_e32 v44, 9, v44
	v_lshlrev_b64 v[44:45], 4, v[44:45]
	s_delay_alu instid0(VALU_DEP_1) | instskip(NEXT) | instid1(VALU_DEP_1)
	v_add_co_u32 v78, s0, s8, v44
	v_add_co_ci_u32_e64 v79, s0, s9, v45, s0
	s_mov_b32 s0, 0x134454ff
	s_mov_b32 s1, 0x3fee6f0e
	;; [unrolled: 1-line block ×3, first 2 shown]
	s_clause 0x8
	global_load_b128 v[44:47], v[78:79], off offset:512
	global_load_b128 v[48:51], v[78:79], off offset:544
	global_load_b128 v[54:57], v[78:79], off offset:576
	global_load_b128 v[58:61], v[78:79], off offset:608
	global_load_b128 v[62:65], v[78:79], off offset:480
	global_load_b128 v[66:69], v[78:79], off offset:528
	global_load_b128 v[70:73], v[78:79], off offset:560
	global_load_b128 v[74:77], v[78:79], off offset:496
	global_load_b128 v[78:81], v[78:79], off offset:592
	s_mov_b32 s8, 0x4755a5e
	s_mov_b32 s9, 0x3fe2cf23
	;; [unrolled: 1-line block ×3, first 2 shown]
	s_waitcnt vmcnt(8)
	v_mul_f64 v[82:83], v[30:31], v[46:47]
	s_waitcnt vmcnt(7)
	v_mul_f64 v[84:85], v[36:37], v[50:51]
	;; [unrolled: 2-line block ×4, first 2 shown]
	v_mul_f64 v[60:61], v[10:11], v[60:61]
	v_mul_f64 v[50:51], v[38:39], v[50:51]
	;; [unrolled: 1-line block ×4, first 2 shown]
	s_waitcnt vmcnt(4)
	v_mul_f64 v[90:91], v[16:17], v[64:65]
	v_mul_f64 v[64:65], v[18:19], v[64:65]
	v_fma_f64 v[28:29], v[28:29], v[44:45], -v[82:83]
	v_fma_f64 v[38:39], v[38:39], v[48:49], v[84:85]
	v_fma_f64 v[6:7], v[6:7], v[54:55], v[86:87]
	v_fma_f64 v[10:11], v[10:11], v[58:59], v[88:89]
	v_fma_f64 v[8:9], v[8:9], v[58:59], -v[60:61]
	v_fma_f64 v[36:37], v[36:37], v[48:49], -v[50:51]
	;; [unrolled: 1-line block ×3, first 2 shown]
	v_fma_f64 v[30:31], v[30:31], v[44:45], v[46:47]
	s_waitcnt vmcnt(3)
	v_mul_f64 v[44:45], v[24:25], v[68:69]
	s_waitcnt vmcnt(2)
	v_mul_f64 v[46:47], v[32:33], v[72:73]
	;; [unrolled: 2-line block ×4, first 2 shown]
	v_mul_f64 v[54:55], v[26:27], v[68:69]
	v_mul_f64 v[56:57], v[34:35], v[72:73]
	;; [unrolled: 1-line block ×3, first 2 shown]
	v_fma_f64 v[18:19], v[18:19], v[62:63], v[90:91]
	v_fma_f64 v[16:17], v[16:17], v[62:63], -v[64:65]
	v_mul_f64 v[68:69], v[2:3], v[80:81]
	v_add_f64 v[60:61], v[38:39], v[6:7]
	v_add_f64 v[76:77], v[6:7], -v[10:11]
	v_add_f64 v[64:65], v[28:29], v[8:9]
	v_add_f64 v[88:89], v[28:29], -v[36:37]
	v_add_f64 v[72:73], v[36:37], v[4:5]
	v_add_f64 v[62:63], v[30:31], v[10:11]
	v_fma_f64 v[26:27], v[26:27], v[66:67], v[44:45]
	v_fma_f64 v[34:35], v[34:35], v[70:71], v[46:47]
	;; [unrolled: 1-line block ×4, first 2 shown]
	v_fma_f64 v[24:25], v[24:25], v[66:67], -v[54:55]
	v_fma_f64 v[32:33], v[32:33], v[70:71], -v[56:57]
	;; [unrolled: 1-line block ×3, first 2 shown]
	v_add_f64 v[44:45], v[28:29], -v[8:9]
	v_add_f64 v[48:49], v[38:39], -v[6:7]
	v_fma_f64 v[0:1], v[0:1], v[78:79], -v[68:69]
	v_add_f64 v[58:59], v[30:31], -v[10:11]
	v_add_f64 v[46:47], v[36:37], -v[4:5]
	;; [unrolled: 1-line block ×7, first 2 shown]
	v_fma_f64 v[50:51], v[60:61], -0.5, v[18:19]
	v_fma_f64 v[56:57], v[64:65], -0.5, v[16:17]
	;; [unrolled: 1-line block ×4, first 2 shown]
	v_add_f64 v[72:73], v[36:37], -v[28:29]
	v_add_f64 v[62:63], v[26:27], v[34:35]
	v_add_f64 v[94:95], v[14:15], v[22:23]
	;; [unrolled: 1-line block ×7, first 2 shown]
	v_add_f64 v[96:97], v[24:25], -v[32:33]
	v_add_f64 v[86:87], v[20:21], v[0:1]
	v_add_f64 v[28:29], v[20:21], -v[0:1]
	v_add_f64 v[98:99], v[22:23], -v[2:3]
	;; [unrolled: 1-line block ×3, first 2 shown]
	v_fma_f64 v[80:81], v[44:45], s[0:1], v[50:51]
	v_fma_f64 v[50:51], v[44:45], s[4:5], v[50:51]
	;; [unrolled: 1-line block ×8, first 2 shown]
	v_fma_f64 v[62:63], v[62:63], -0.5, v[14:15]
	v_fma_f64 v[14:15], v[64:65], -0.5, v[14:15]
	v_add_f64 v[18:19], v[18:19], v[38:39]
	v_fma_f64 v[64:65], v[66:67], -0.5, v[12:13]
	v_add_f64 v[66:67], v[68:69], v[70:71]
	v_add_f64 v[68:69], v[74:75], v[76:77]
	;; [unrolled: 1-line block ×3, first 2 shown]
	v_fma_f64 v[12:13], v[86:87], -0.5, v[12:13]
	v_add_f64 v[78:79], v[88:89], v[90:91]
	v_add_f64 v[16:17], v[16:17], v[36:37]
	v_fma_f64 v[72:73], v[46:47], s[8:9], v[80:81]
	v_fma_f64 v[46:47], v[46:47], s[10:11], v[50:51]
	;; [unrolled: 1-line block ×8, first 2 shown]
	v_add_f64 v[54:55], v[22:23], -v[26:27]
	v_add_f64 v[22:23], v[26:27], -v[22:23]
	;; [unrolled: 1-line block ×4, first 2 shown]
	v_add_f64 v[26:27], v[94:95], v[26:27]
	v_add_f64 v[24:25], v[30:31], v[24:25]
	v_add_f64 v[56:57], v[2:3], -v[34:35]
	v_add_f64 v[58:59], v[34:35], -v[2:3]
	;; [unrolled: 1-line block ×4, first 2 shown]
	v_fma_f64 v[30:31], v[28:29], s[0:1], v[62:63]
	v_fma_f64 v[36:37], v[96:97], s[4:5], v[14:15]
	;; [unrolled: 1-line block ×8, first 2 shown]
	v_add_f64 v[6:7], v[18:19], v[6:7]
	v_add_f64 v[4:5], v[16:17], v[4:5]
	v_fma_f64 v[72:73], v[66:67], s[16:17], v[72:73]
	v_fma_f64 v[46:47], v[66:67], s[16:17], v[46:47]
	;; [unrolled: 1-line block ×8, first 2 shown]
	v_add_f64 v[26:27], v[26:27], v[34:35]
	v_add_f64 v[18:19], v[24:25], v[32:33]
	;; [unrolled: 1-line block ×6, first 2 shown]
	v_fma_f64 v[16:17], v[96:97], s[8:9], v[30:31]
	v_fma_f64 v[24:25], v[28:29], s[8:9], v[36:37]
	;; [unrolled: 1-line block ×8, first 2 shown]
	v_add_f64 v[6:7], v[6:7], v[10:11]
	v_add_f64 v[4:5], v[4:5], v[8:9]
	v_mul_f64 v[32:33], v[72:73], s[18:19]
	v_mul_f64 v[62:63], v[46:47], s[8:9]
	;; [unrolled: 1-line block ×8, first 2 shown]
	v_add_f64 v[26:27], v[26:27], v[2:3]
	v_add_f64 v[10:11], v[18:19], v[0:1]
	v_fma_f64 v[8:9], v[54:55], s[16:17], v[16:17]
	v_fma_f64 v[16:17], v[22:23], s[16:17], v[24:25]
	;; [unrolled: 1-line block ×6, first 2 shown]
	v_fma_f64 v[22:23], v[48:49], s[10:11], -v[32:33]
	v_fma_f64 v[30:31], v[44:45], s[16:17], v[36:37]
	v_fma_f64 v[44:45], v[20:21], s[16:17], v[38:39]
	;; [unrolled: 1-line block ×5, first 2 shown]
	v_fma_f64 v[28:29], v[50:51], s[4:5], -v[34:35]
	v_fma_f64 v[48:49], v[76:77], s[16:17], v[64:65]
	v_fma_f64 v[50:51], v[74:75], s[0:1], -v[66:67]
	v_fma_f64 v[56:57], v[72:73], s[8:9], -v[68:69]
	v_add_f64 v[2:3], v[26:27], -v[6:7]
	v_add_f64 v[0:1], v[10:11], -v[4:5]
	v_add_f64 v[6:7], v[26:27], v[6:7]
	v_add_f64 v[4:5], v[10:11], v[4:5]
	v_add_f64 v[10:11], v[8:9], -v[22:23]
	v_add_f64 v[22:23], v[8:9], v[22:23]
	v_add_f64 v[18:19], v[24:25], -v[30:31]
	v_add_f64 v[30:31], v[24:25], v[30:31]
	v_add_f64 v[34:35], v[54:55], v[38:39]
	;; [unrolled: 1-line block ×3, first 2 shown]
	v_add_f64 v[14:15], v[16:17], -v[28:29]
	v_add_f64 v[26:27], v[16:17], v[28:29]
	v_add_f64 v[28:29], v[12:13], v[48:49]
	;; [unrolled: 1-line block ×4, first 2 shown]
	v_add_f64 v[38:39], v[54:55], -v[38:39]
	v_add_f64 v[36:37], v[36:37], -v[46:47]
	;; [unrolled: 1-line block ×5, first 2 shown]
	ds_store_b128 v53, v[4:7]
	ds_store_b128 v53, v[32:35] offset:560
	ds_store_b128 v53, v[28:31] offset:1120
	;; [unrolled: 1-line block ×9, first 2 shown]
.LBB0_19:
	s_or_b32 exec_lo, exec_lo, s14
	s_waitcnt lgkmcnt(0)
	s_barrier
	buffer_gl0_inv
	s_and_saveexec_b32 s0, vcc_lo
	s_cbranch_execz .LBB0_21
; %bb.20:
	v_mul_lo_u32 v4, s3, v42
	v_mul_lo_u32 v5, s2, v43
	v_mad_u64_u32 v[0:1], null, s2, v42, 0
	v_add_nc_u32_e32 v10, 50, v52
	v_mad_u64_u32 v[2:3], null, s12, v52, 0
	v_lshl_add_u32 v17, v52, 4, 0
	v_add_nc_u32_e32 v18, 0x96, v52
	s_delay_alu instid0(VALU_DEP_4) | instskip(SKIP_3) | instid1(VALU_DEP_3)
	v_mad_u64_u32 v[8:9], null, s12, v10, 0
	v_add3_u32 v1, v1, v5, v4
	v_mad_u64_u32 v[4:5], null, s13, v52, v[3:4]
	v_add_nc_u32_e32 v16, 0x64, v52
	v_lshlrev_b64 v[0:1], 4, v[0:1]
	v_mov_b32_e32 v5, v9
	s_delay_alu instid0(VALU_DEP_4) | instskip(NEXT) | instid1(VALU_DEP_3)
	v_mov_b32_e32 v3, v4
	v_add_co_u32 v9, vcc_lo, s6, v0
	s_delay_alu instid0(VALU_DEP_4) | instskip(SKIP_3) | instid1(VALU_DEP_3)
	v_add_co_ci_u32_e32 v12, vcc_lo, s7, v1, vcc_lo
	v_lshlrev_b64 v[0:1], 4, v[40:41]
	v_mad_u64_u32 v[6:7], null, s13, v10, v[5:6]
	v_mad_u64_u32 v[10:11], null, s12, v16, 0
	v_add_co_u32 v30, vcc_lo, v9, v0
	s_delay_alu instid0(VALU_DEP_4)
	v_add_co_ci_u32_e32 v31, vcc_lo, v12, v1, vcc_lo
	v_lshlrev_b64 v[12:13], 4, v[2:3]
	v_mov_b32_e32 v9, v6
	ds_load_b128 v[0:3], v17
	ds_load_b128 v[4:7], v17 offset:800
	v_add_co_u32 v12, vcc_lo, v30, v12
	v_lshlrev_b64 v[8:9], 4, v[8:9]
	v_add_co_ci_u32_e32 v13, vcc_lo, v31, v13, vcc_lo
	s_delay_alu instid0(VALU_DEP_3) | instskip(SKIP_1) | instid1(VALU_DEP_4)
	v_mad_u64_u32 v[14:15], null, s13, v16, v[11:12]
	v_mad_u64_u32 v[15:16], null, s12, v18, 0
	v_add_co_u32 v8, vcc_lo, v30, v8
	v_add_co_ci_u32_e32 v9, vcc_lo, v31, v9, vcc_lo
	s_delay_alu instid0(VALU_DEP_4)
	v_mov_b32_e32 v11, v14
	s_waitcnt lgkmcnt(1)
	global_store_b128 v[12:13], v[0:3], off
	s_waitcnt lgkmcnt(0)
	global_store_b128 v[8:9], v[4:7], off
	v_mov_b32_e32 v0, v16
	v_lshlrev_b64 v[1:2], 4, v[10:11]
	v_add_nc_u32_e32 v5, 0xc8, v52
	s_delay_alu instid0(VALU_DEP_2) | instskip(NEXT) | instid1(VALU_DEP_2)
	v_mad_u64_u32 v[3:4], null, s13, v18, v[0:1]
	v_mad_u64_u32 v[8:9], null, s12, v5, 0
	v_add_nc_u32_e32 v19, 0xfa, v52
	v_add_nc_u32_e32 v18, 0x12c, v52
	v_add_co_u32 v22, vcc_lo, v30, v1
	v_mov_b32_e32 v16, v3
	s_delay_alu instid0(VALU_DEP_4) | instskip(SKIP_2) | instid1(VALU_DEP_4)
	v_mad_u64_u32 v[20:21], null, s12, v19, 0
	v_mov_b32_e32 v0, v9
	v_mad_u64_u32 v[24:25], null, s12, v18, 0
	v_lshlrev_b64 v[11:12], 4, v[15:16]
	v_add_co_ci_u32_e32 v23, vcc_lo, v31, v2, vcc_lo
	s_delay_alu instid0(VALU_DEP_4)
	v_mad_u64_u32 v[9:10], null, s13, v5, v[0:1]
	v_mov_b32_e32 v10, v21
	v_mov_b32_e32 v13, v25
	ds_load_b128 v[0:3], v17 offset:1600
	ds_load_b128 v[4:7], v17 offset:2400
	v_mad_u64_u32 v[14:15], null, s13, v19, v[10:11]
	v_lshlrev_b64 v[28:29], 4, v[8:9]
	s_delay_alu instid0(VALU_DEP_2)
	v_mov_b32_e32 v21, v14
	v_mad_u64_u32 v[25:26], null, s13, v18, v[13:14]
	v_add_co_u32 v26, vcc_lo, v30, v11
	v_add_co_ci_u32_e32 v27, vcc_lo, v31, v12, vcc_lo
	ds_load_b128 v[8:11], v17 offset:3200
	ds_load_b128 v[12:15], v17 offset:4000
	;; [unrolled: 1-line block ×3, first 2 shown]
	v_lshlrev_b64 v[20:21], 4, v[20:21]
	v_add_co_u32 v28, vcc_lo, v30, v28
	v_lshlrev_b64 v[24:25], 4, v[24:25]
	v_add_co_ci_u32_e32 v29, vcc_lo, v31, v29, vcc_lo
	s_delay_alu instid0(VALU_DEP_4) | instskip(SKIP_1) | instid1(VALU_DEP_4)
	v_add_co_u32 v20, vcc_lo, v30, v20
	v_add_co_ci_u32_e32 v21, vcc_lo, v31, v21, vcc_lo
	v_add_co_u32 v24, vcc_lo, v30, v24
	v_add_co_ci_u32_e32 v25, vcc_lo, v31, v25, vcc_lo
	s_waitcnt lgkmcnt(4)
	global_store_b128 v[22:23], v[0:3], off
	s_waitcnt lgkmcnt(3)
	global_store_b128 v[26:27], v[4:7], off
	;; [unrolled: 2-line block ×5, first 2 shown]
.LBB0_21:
	s_nop 0
	s_sendmsg sendmsg(MSG_DEALLOC_VGPRS)
	s_endpgm
	.section	.rodata,"a",@progbits
	.p2align	6, 0x0
	.amdhsa_kernel fft_rtc_fwd_len350_factors_5_7_10_wgs_50_tpt_50_dp_op_CI_CI_sbrr_dirReg
		.amdhsa_group_segment_fixed_size 0
		.amdhsa_private_segment_fixed_size 0
		.amdhsa_kernarg_size 104
		.amdhsa_user_sgpr_count 15
		.amdhsa_user_sgpr_dispatch_ptr 0
		.amdhsa_user_sgpr_queue_ptr 0
		.amdhsa_user_sgpr_kernarg_segment_ptr 1
		.amdhsa_user_sgpr_dispatch_id 0
		.amdhsa_user_sgpr_private_segment_size 0
		.amdhsa_wavefront_size32 1
		.amdhsa_uses_dynamic_stack 0
		.amdhsa_enable_private_segment 0
		.amdhsa_system_sgpr_workgroup_id_x 1
		.amdhsa_system_sgpr_workgroup_id_y 0
		.amdhsa_system_sgpr_workgroup_id_z 0
		.amdhsa_system_sgpr_workgroup_info 0
		.amdhsa_system_vgpr_workitem_id 0
		.amdhsa_next_free_vgpr 111
		.amdhsa_next_free_sgpr 31
		.amdhsa_reserve_vcc 1
		.amdhsa_float_round_mode_32 0
		.amdhsa_float_round_mode_16_64 0
		.amdhsa_float_denorm_mode_32 3
		.amdhsa_float_denorm_mode_16_64 3
		.amdhsa_dx10_clamp 1
		.amdhsa_ieee_mode 1
		.amdhsa_fp16_overflow 0
		.amdhsa_workgroup_processor_mode 1
		.amdhsa_memory_ordered 1
		.amdhsa_forward_progress 0
		.amdhsa_shared_vgpr_count 0
		.amdhsa_exception_fp_ieee_invalid_op 0
		.amdhsa_exception_fp_denorm_src 0
		.amdhsa_exception_fp_ieee_div_zero 0
		.amdhsa_exception_fp_ieee_overflow 0
		.amdhsa_exception_fp_ieee_underflow 0
		.amdhsa_exception_fp_ieee_inexact 0
		.amdhsa_exception_int_div_zero 0
	.end_amdhsa_kernel
	.text
.Lfunc_end0:
	.size	fft_rtc_fwd_len350_factors_5_7_10_wgs_50_tpt_50_dp_op_CI_CI_sbrr_dirReg, .Lfunc_end0-fft_rtc_fwd_len350_factors_5_7_10_wgs_50_tpt_50_dp_op_CI_CI_sbrr_dirReg
                                        ; -- End function
	.section	.AMDGPU.csdata,"",@progbits
; Kernel info:
; codeLenInByte = 7252
; NumSgprs: 33
; NumVgprs: 111
; ScratchSize: 0
; MemoryBound: 0
; FloatMode: 240
; IeeeMode: 1
; LDSByteSize: 0 bytes/workgroup (compile time only)
; SGPRBlocks: 4
; VGPRBlocks: 13
; NumSGPRsForWavesPerEU: 33
; NumVGPRsForWavesPerEU: 111
; Occupancy: 12
; WaveLimiterHint : 1
; COMPUTE_PGM_RSRC2:SCRATCH_EN: 0
; COMPUTE_PGM_RSRC2:USER_SGPR: 15
; COMPUTE_PGM_RSRC2:TRAP_HANDLER: 0
; COMPUTE_PGM_RSRC2:TGID_X_EN: 1
; COMPUTE_PGM_RSRC2:TGID_Y_EN: 0
; COMPUTE_PGM_RSRC2:TGID_Z_EN: 0
; COMPUTE_PGM_RSRC2:TIDIG_COMP_CNT: 0
	.text
	.p2alignl 7, 3214868480
	.fill 96, 4, 3214868480
	.type	__hip_cuid_ff95361244b353be,@object ; @__hip_cuid_ff95361244b353be
	.section	.bss,"aw",@nobits
	.globl	__hip_cuid_ff95361244b353be
__hip_cuid_ff95361244b353be:
	.byte	0                               ; 0x0
	.size	__hip_cuid_ff95361244b353be, 1

	.ident	"AMD clang version 19.0.0git (https://github.com/RadeonOpenCompute/llvm-project roc-6.4.0 25133 c7fe45cf4b819c5991fe208aaa96edf142730f1d)"
	.section	".note.GNU-stack","",@progbits
	.addrsig
	.addrsig_sym __hip_cuid_ff95361244b353be
	.amdgpu_metadata
---
amdhsa.kernels:
  - .args:
      - .actual_access:  read_only
        .address_space:  global
        .offset:         0
        .size:           8
        .value_kind:     global_buffer
      - .offset:         8
        .size:           8
        .value_kind:     by_value
      - .actual_access:  read_only
        .address_space:  global
        .offset:         16
        .size:           8
        .value_kind:     global_buffer
      - .actual_access:  read_only
        .address_space:  global
        .offset:         24
        .size:           8
        .value_kind:     global_buffer
      - .actual_access:  read_only
        .address_space:  global
        .offset:         32
        .size:           8
        .value_kind:     global_buffer
      - .offset:         40
        .size:           8
        .value_kind:     by_value
      - .actual_access:  read_only
        .address_space:  global
        .offset:         48
        .size:           8
        .value_kind:     global_buffer
      - .actual_access:  read_only
        .address_space:  global
        .offset:         56
        .size:           8
        .value_kind:     global_buffer
      - .offset:         64
        .size:           4
        .value_kind:     by_value
      - .actual_access:  read_only
        .address_space:  global
        .offset:         72
        .size:           8
        .value_kind:     global_buffer
      - .actual_access:  read_only
        .address_space:  global
        .offset:         80
        .size:           8
        .value_kind:     global_buffer
      - .actual_access:  read_only
        .address_space:  global
        .offset:         88
        .size:           8
        .value_kind:     global_buffer
      - .actual_access:  write_only
        .address_space:  global
        .offset:         96
        .size:           8
        .value_kind:     global_buffer
    .group_segment_fixed_size: 0
    .kernarg_segment_align: 8
    .kernarg_segment_size: 104
    .language:       OpenCL C
    .language_version:
      - 2
      - 0
    .max_flat_workgroup_size: 50
    .name:           fft_rtc_fwd_len350_factors_5_7_10_wgs_50_tpt_50_dp_op_CI_CI_sbrr_dirReg
    .private_segment_fixed_size: 0
    .sgpr_count:     33
    .sgpr_spill_count: 0
    .symbol:         fft_rtc_fwd_len350_factors_5_7_10_wgs_50_tpt_50_dp_op_CI_CI_sbrr_dirReg.kd
    .uniform_work_group_size: 1
    .uses_dynamic_stack: false
    .vgpr_count:     111
    .vgpr_spill_count: 0
    .wavefront_size: 32
    .workgroup_processor_mode: 1
amdhsa.target:   amdgcn-amd-amdhsa--gfx1100
amdhsa.version:
  - 1
  - 2
...

	.end_amdgpu_metadata
